;; amdgpu-corpus repo=ROCm/rocSOLVER kind=compiled arch=gfx1100 opt=O3
	.text
	.amdgcn_target "amdgcn-amd-amdhsa--gfx1100"
	.amdhsa_code_object_version 6
	.section	.text._ZN9rocsolver6v33100L12laswp_kernelIfiPfEEvT0_T1_lS3_S3_lS3_S3_PKS3_lS3_l,"axG",@progbits,_ZN9rocsolver6v33100L12laswp_kernelIfiPfEEvT0_T1_lS3_S3_lS3_S3_PKS3_lS3_l,comdat
	.globl	_ZN9rocsolver6v33100L12laswp_kernelIfiPfEEvT0_T1_lS3_S3_lS3_S3_PKS3_lS3_l ; -- Begin function _ZN9rocsolver6v33100L12laswp_kernelIfiPfEEvT0_T1_lS3_S3_lS3_S3_PKS3_lS3_l
	.p2align	8
	.type	_ZN9rocsolver6v33100L12laswp_kernelIfiPfEEvT0_T1_lS3_S3_lS3_S3_PKS3_lS3_l,@function
_ZN9rocsolver6v33100L12laswp_kernelIfiPfEEvT0_T1_lS3_S3_lS3_S3_PKS3_lS3_l: ; @_ZN9rocsolver6v33100L12laswp_kernelIfiPfEEvT0_T1_lS3_S3_lS3_S3_PKS3_lS3_l
; %bb.0:
	s_clause 0x1
	s_load_b32 s2, s[0:1], 0x5c
	s_load_b32 s3, s[0:1], 0x0
	s_waitcnt lgkmcnt(0)
	s_and_b32 s2, s2, 0xffff
	s_delay_alu instid0(SALU_CYCLE_1) | instskip(SKIP_1) | instid1(VALU_DEP_1)
	v_mad_u64_u32 v[1:2], null, s14, s2, v[0:1]
	s_mov_b32 s2, exec_lo
	v_cmpx_gt_i32_e64 s3, v1
	s_cbranch_execz .LBB0_10
; %bb.1:
	s_clause 0x1
	s_load_b32 s16, s[0:1], 0x40
	s_load_b64 s[2:3], s[0:1], 0x28
	s_waitcnt lgkmcnt(0)
	s_cmp_gt_i32 s16, -1
	s_cbranch_scc0 .LBB0_3
; %bb.2:
	s_mov_b32 s12, 1
	s_add_i32 s13, s3, 1
	s_mov_b32 s14, s2
	s_cbranch_execz .LBB0_4
	s_branch .LBB0_5
.LBB0_3:
                                        ; implicit-def: $sgpr12
                                        ; implicit-def: $sgpr13
	s_mov_b32 s14, s2
.LBB0_4:
	s_mov_b32 s12, -1
	s_add_i32 s13, s2, -1
	s_sub_i32 s16, 0, s16
	s_mov_b32 s14, s3
.LBB0_5:
	s_delay_alu instid0(SALU_CYCLE_1)
	s_cmp_eq_u32 s14, s13
	s_cbranch_scc1 .LBB0_10
; %bb.6:
	s_clause 0x2
	s_load_b64 s[18:19], s[0:1], 0x48
	s_load_b256 s[4:11], s[0:1], 0x8
	s_load_b128 s[20:23], s[0:1], 0x30
	s_ashr_i32 s3, s15, 31
	s_waitcnt lgkmcnt(0)
	s_mul_i32 s0, s15, s19
	s_mul_hi_u32 s1, s15, s18
	s_mul_i32 s17, s3, s18
	s_add_i32 s1, s1, s0
	s_mul_i32 s0, s15, s18
	s_add_i32 s1, s1, s17
	s_mul_i32 s11, s15, s11
	s_lshl_b64 s[0:1], s[0:1], 2
	s_mul_hi_u32 s17, s15, s10
	s_add_u32 s18, s20, s0
	s_addc_u32 s19, s21, s1
	s_lshl_b64 s[0:1], s[22:23], 2
	s_mul_i32 s3, s3, s10
	s_add_u32 s18, s18, s0
	s_addc_u32 s19, s19, s1
	s_add_i32 s1, s17, s11
	s_mul_i32 s0, s15, s10
	s_add_i32 s1, s1, s3
	v_mul_lo_u32 v0, v1, s9
	s_lshl_b64 s[0:1], s[0:1], 2
	s_delay_alu instid0(SALU_CYCLE_1)
	s_add_u32 s3, s4, s0
	s_addc_u32 s4, s5, s1
	s_lshl_b64 s[0:1], s[6:7], 2
	s_mul_i32 s7, s12, s8
	s_add_u32 s3, s3, s0
	s_addc_u32 s4, s4, s1
	s_add_u32 s5, s18, -4
	s_addc_u32 s6, s19, -1
	s_add_i32 s1, s14, -1
	s_sub_i32 s0, s14, s2
	v_mad_u64_u32 v[1:2], null, s8, s1, v[0:1]
	s_mul_i32 s0, s16, s0
	s_delay_alu instid0(SALU_CYCLE_1)
	s_add_i32 s0, s2, s0
	s_mul_i32 s2, s16, s12
	s_set_inst_prefetch_distance 0x1
	s_branch .LBB0_8
	.p2align	6
.LBB0_7:                                ;   in Loop: Header=BB0_8 Depth=1
	v_add_nc_u32_e32 v1, s7, v1
	s_add_i32 s14, s14, s12
	s_add_i32 s0, s0, s2
	s_cmp_lg_u32 s13, s14
	s_cbranch_scc0 .LBB0_10
.LBB0_8:                                ; =>This Inner Loop Header: Depth=1
	s_ashr_i32 s1, s0, 31
	s_delay_alu instid0(SALU_CYCLE_1) | instskip(NEXT) | instid1(SALU_CYCLE_1)
	s_lshl_b64 s[10:11], s[0:1], 2
	s_add_u32 s10, s5, s10
	s_addc_u32 s11, s6, s11
	s_load_b32 s1, s[10:11], 0x0
	s_waitcnt lgkmcnt(0)
	s_cmp_eq_u32 s14, s1
	s_cbranch_scc1 .LBB0_7
; %bb.9:                                ;   in Loop: Header=BB0_8 Depth=1
	s_add_i32 s1, s1, -1
	v_ashrrev_i32_e32 v2, 31, v1
	v_mad_u64_u32 v[3:4], null, s1, s8, v[0:1]
	s_delay_alu instid0(VALU_DEP_2) | instskip(NEXT) | instid1(VALU_DEP_2)
	v_lshlrev_b64 v[5:6], 2, v[1:2]
	v_ashrrev_i32_e32 v4, 31, v3
	s_delay_alu instid0(VALU_DEP_1) | instskip(NEXT) | instid1(VALU_DEP_1)
	v_lshlrev_b64 v[3:4], 2, v[3:4]
	v_add_co_u32 v2, vcc_lo, s3, v3
	s_delay_alu instid0(VALU_DEP_2)
	v_add_co_ci_u32_e32 v3, vcc_lo, s4, v4, vcc_lo
	v_add_co_u32 v4, vcc_lo, s3, v5
	v_add_co_ci_u32_e32 v5, vcc_lo, s4, v6, vcc_lo
	s_clause 0x1
	global_load_b32 v6, v[2:3], off
	global_load_b32 v7, v[4:5], off
	s_waitcnt vmcnt(1)
	global_store_b32 v[4:5], v6, off
	s_waitcnt vmcnt(0)
	global_store_b32 v[2:3], v7, off
	s_branch .LBB0_7
.LBB0_10:
	s_set_inst_prefetch_distance 0x2
	s_nop 0
	s_sendmsg sendmsg(MSG_DEALLOC_VGPRS)
	s_endpgm
	.section	.rodata,"a",@progbits
	.p2align	6, 0x0
	.amdhsa_kernel _ZN9rocsolver6v33100L12laswp_kernelIfiPfEEvT0_T1_lS3_S3_lS3_S3_PKS3_lS3_l
		.amdhsa_group_segment_fixed_size 0
		.amdhsa_private_segment_fixed_size 0
		.amdhsa_kernarg_size 336
		.amdhsa_user_sgpr_count 14
		.amdhsa_user_sgpr_dispatch_ptr 0
		.amdhsa_user_sgpr_queue_ptr 0
		.amdhsa_user_sgpr_kernarg_segment_ptr 1
		.amdhsa_user_sgpr_dispatch_id 0
		.amdhsa_user_sgpr_private_segment_size 0
		.amdhsa_wavefront_size32 1
		.amdhsa_uses_dynamic_stack 0
		.amdhsa_enable_private_segment 0
		.amdhsa_system_sgpr_workgroup_id_x 1
		.amdhsa_system_sgpr_workgroup_id_y 1
		.amdhsa_system_sgpr_workgroup_id_z 0
		.amdhsa_system_sgpr_workgroup_info 0
		.amdhsa_system_vgpr_workitem_id 0
		.amdhsa_next_free_vgpr 8
		.amdhsa_next_free_sgpr 24
		.amdhsa_reserve_vcc 1
		.amdhsa_float_round_mode_32 0
		.amdhsa_float_round_mode_16_64 0
		.amdhsa_float_denorm_mode_32 3
		.amdhsa_float_denorm_mode_16_64 3
		.amdhsa_dx10_clamp 1
		.amdhsa_ieee_mode 1
		.amdhsa_fp16_overflow 0
		.amdhsa_workgroup_processor_mode 1
		.amdhsa_memory_ordered 1
		.amdhsa_forward_progress 0
		.amdhsa_shared_vgpr_count 0
		.amdhsa_exception_fp_ieee_invalid_op 0
		.amdhsa_exception_fp_denorm_src 0
		.amdhsa_exception_fp_ieee_div_zero 0
		.amdhsa_exception_fp_ieee_overflow 0
		.amdhsa_exception_fp_ieee_underflow 0
		.amdhsa_exception_fp_ieee_inexact 0
		.amdhsa_exception_int_div_zero 0
	.end_amdhsa_kernel
	.section	.text._ZN9rocsolver6v33100L12laswp_kernelIfiPfEEvT0_T1_lS3_S3_lS3_S3_PKS3_lS3_l,"axG",@progbits,_ZN9rocsolver6v33100L12laswp_kernelIfiPfEEvT0_T1_lS3_S3_lS3_S3_PKS3_lS3_l,comdat
.Lfunc_end0:
	.size	_ZN9rocsolver6v33100L12laswp_kernelIfiPfEEvT0_T1_lS3_S3_lS3_S3_PKS3_lS3_l, .Lfunc_end0-_ZN9rocsolver6v33100L12laswp_kernelIfiPfEEvT0_T1_lS3_S3_lS3_S3_PKS3_lS3_l
                                        ; -- End function
	.section	.AMDGPU.csdata,"",@progbits
; Kernel info:
; codeLenInByte = 536
; NumSgprs: 26
; NumVgprs: 8
; ScratchSize: 0
; MemoryBound: 0
; FloatMode: 240
; IeeeMode: 1
; LDSByteSize: 0 bytes/workgroup (compile time only)
; SGPRBlocks: 3
; VGPRBlocks: 0
; NumSGPRsForWavesPerEU: 26
; NumVGPRsForWavesPerEU: 8
; Occupancy: 16
; WaveLimiterHint : 1
; COMPUTE_PGM_RSRC2:SCRATCH_EN: 0
; COMPUTE_PGM_RSRC2:USER_SGPR: 14
; COMPUTE_PGM_RSRC2:TRAP_HANDLER: 0
; COMPUTE_PGM_RSRC2:TGID_X_EN: 1
; COMPUTE_PGM_RSRC2:TGID_Y_EN: 1
; COMPUTE_PGM_RSRC2:TGID_Z_EN: 0
; COMPUTE_PGM_RSRC2:TIDIG_COMP_CNT: 0
	.section	.text._ZN9rocsolver6v33100L12laswp_kernelIdiPdEEvT0_T1_lS3_S3_lS3_S3_PKS3_lS3_l,"axG",@progbits,_ZN9rocsolver6v33100L12laswp_kernelIdiPdEEvT0_T1_lS3_S3_lS3_S3_PKS3_lS3_l,comdat
	.globl	_ZN9rocsolver6v33100L12laswp_kernelIdiPdEEvT0_T1_lS3_S3_lS3_S3_PKS3_lS3_l ; -- Begin function _ZN9rocsolver6v33100L12laswp_kernelIdiPdEEvT0_T1_lS3_S3_lS3_S3_PKS3_lS3_l
	.p2align	8
	.type	_ZN9rocsolver6v33100L12laswp_kernelIdiPdEEvT0_T1_lS3_S3_lS3_S3_PKS3_lS3_l,@function
_ZN9rocsolver6v33100L12laswp_kernelIdiPdEEvT0_T1_lS3_S3_lS3_S3_PKS3_lS3_l: ; @_ZN9rocsolver6v33100L12laswp_kernelIdiPdEEvT0_T1_lS3_S3_lS3_S3_PKS3_lS3_l
; %bb.0:
	s_clause 0x1
	s_load_b32 s2, s[0:1], 0x5c
	s_load_b32 s3, s[0:1], 0x0
	s_waitcnt lgkmcnt(0)
	s_and_b32 s2, s2, 0xffff
	s_delay_alu instid0(SALU_CYCLE_1) | instskip(SKIP_1) | instid1(VALU_DEP_1)
	v_mad_u64_u32 v[1:2], null, s14, s2, v[0:1]
	s_mov_b32 s2, exec_lo
	v_cmpx_gt_i32_e64 s3, v1
	s_cbranch_execz .LBB1_10
; %bb.1:
	s_clause 0x1
	s_load_b32 s16, s[0:1], 0x40
	s_load_b64 s[2:3], s[0:1], 0x28
	s_waitcnt lgkmcnt(0)
	s_cmp_gt_i32 s16, -1
	s_cbranch_scc0 .LBB1_3
; %bb.2:
	s_mov_b32 s12, 1
	s_add_i32 s13, s3, 1
	s_mov_b32 s14, s2
	s_cbranch_execz .LBB1_4
	s_branch .LBB1_5
.LBB1_3:
                                        ; implicit-def: $sgpr12
                                        ; implicit-def: $sgpr13
	s_mov_b32 s14, s2
.LBB1_4:
	s_mov_b32 s12, -1
	s_add_i32 s13, s2, -1
	s_sub_i32 s16, 0, s16
	s_mov_b32 s14, s3
.LBB1_5:
	s_delay_alu instid0(SALU_CYCLE_1)
	s_cmp_eq_u32 s14, s13
	s_cbranch_scc1 .LBB1_10
; %bb.6:
	s_clause 0x2
	s_load_b64 s[18:19], s[0:1], 0x48
	s_load_b256 s[4:11], s[0:1], 0x8
	s_load_b128 s[20:23], s[0:1], 0x30
	s_ashr_i32 s3, s15, 31
	s_waitcnt lgkmcnt(0)
	s_mul_i32 s0, s15, s19
	s_mul_hi_u32 s1, s15, s18
	s_mul_i32 s17, s3, s18
	s_add_i32 s1, s1, s0
	s_mul_i32 s0, s15, s18
	s_add_i32 s1, s1, s17
	s_mul_i32 s11, s15, s11
	s_lshl_b64 s[0:1], s[0:1], 2
	s_mul_hi_u32 s17, s15, s10
	s_add_u32 s18, s20, s0
	s_addc_u32 s19, s21, s1
	s_lshl_b64 s[0:1], s[22:23], 2
	s_mul_i32 s3, s3, s10
	s_add_u32 s18, s18, s0
	s_addc_u32 s19, s19, s1
	s_add_i32 s1, s17, s11
	s_mul_i32 s0, s15, s10
	s_add_i32 s1, s1, s3
	v_mul_lo_u32 v0, v1, s9
	s_lshl_b64 s[0:1], s[0:1], 3
	s_delay_alu instid0(SALU_CYCLE_1)
	s_add_u32 s3, s4, s0
	s_addc_u32 s4, s5, s1
	s_lshl_b64 s[0:1], s[6:7], 3
	s_mul_i32 s7, s12, s8
	s_add_u32 s3, s3, s0
	s_addc_u32 s4, s4, s1
	s_add_u32 s5, s18, -4
	s_addc_u32 s6, s19, -1
	s_add_i32 s1, s14, -1
	s_sub_i32 s0, s14, s2
	v_mad_u64_u32 v[1:2], null, s8, s1, v[0:1]
	s_mul_i32 s0, s16, s0
	s_delay_alu instid0(SALU_CYCLE_1)
	s_add_i32 s0, s2, s0
	s_mul_i32 s2, s16, s12
	s_set_inst_prefetch_distance 0x1
	s_branch .LBB1_8
	.p2align	6
.LBB1_7:                                ;   in Loop: Header=BB1_8 Depth=1
	v_add_nc_u32_e32 v1, s7, v1
	s_add_i32 s14, s14, s12
	s_add_i32 s0, s0, s2
	s_cmp_lg_u32 s13, s14
	s_cbranch_scc0 .LBB1_10
.LBB1_8:                                ; =>This Inner Loop Header: Depth=1
	s_ashr_i32 s1, s0, 31
	s_delay_alu instid0(SALU_CYCLE_1) | instskip(NEXT) | instid1(SALU_CYCLE_1)
	s_lshl_b64 s[10:11], s[0:1], 2
	s_add_u32 s10, s5, s10
	s_addc_u32 s11, s6, s11
	s_load_b32 s1, s[10:11], 0x0
	s_waitcnt lgkmcnt(0)
	s_cmp_eq_u32 s14, s1
	s_cbranch_scc1 .LBB1_7
; %bb.9:                                ;   in Loop: Header=BB1_8 Depth=1
	s_add_i32 s1, s1, -1
	v_ashrrev_i32_e32 v2, 31, v1
	v_mad_u64_u32 v[3:4], null, s1, s8, v[0:1]
	s_delay_alu instid0(VALU_DEP_2) | instskip(NEXT) | instid1(VALU_DEP_2)
	v_lshlrev_b64 v[5:6], 3, v[1:2]
	v_ashrrev_i32_e32 v4, 31, v3
	s_delay_alu instid0(VALU_DEP_1) | instskip(NEXT) | instid1(VALU_DEP_1)
	v_lshlrev_b64 v[3:4], 3, v[3:4]
	v_add_co_u32 v2, vcc_lo, s3, v3
	s_delay_alu instid0(VALU_DEP_2)
	v_add_co_ci_u32_e32 v3, vcc_lo, s4, v4, vcc_lo
	v_add_co_u32 v4, vcc_lo, s3, v5
	v_add_co_ci_u32_e32 v5, vcc_lo, s4, v6, vcc_lo
	s_clause 0x1
	global_load_b64 v[6:7], v[2:3], off
	global_load_b64 v[8:9], v[4:5], off
	s_waitcnt vmcnt(1)
	global_store_b64 v[4:5], v[6:7], off
	s_waitcnt vmcnt(0)
	global_store_b64 v[2:3], v[8:9], off
	s_branch .LBB1_7
.LBB1_10:
	s_set_inst_prefetch_distance 0x2
	s_nop 0
	s_sendmsg sendmsg(MSG_DEALLOC_VGPRS)
	s_endpgm
	.section	.rodata,"a",@progbits
	.p2align	6, 0x0
	.amdhsa_kernel _ZN9rocsolver6v33100L12laswp_kernelIdiPdEEvT0_T1_lS3_S3_lS3_S3_PKS3_lS3_l
		.amdhsa_group_segment_fixed_size 0
		.amdhsa_private_segment_fixed_size 0
		.amdhsa_kernarg_size 336
		.amdhsa_user_sgpr_count 14
		.amdhsa_user_sgpr_dispatch_ptr 0
		.amdhsa_user_sgpr_queue_ptr 0
		.amdhsa_user_sgpr_kernarg_segment_ptr 1
		.amdhsa_user_sgpr_dispatch_id 0
		.amdhsa_user_sgpr_private_segment_size 0
		.amdhsa_wavefront_size32 1
		.amdhsa_uses_dynamic_stack 0
		.amdhsa_enable_private_segment 0
		.amdhsa_system_sgpr_workgroup_id_x 1
		.amdhsa_system_sgpr_workgroup_id_y 1
		.amdhsa_system_sgpr_workgroup_id_z 0
		.amdhsa_system_sgpr_workgroup_info 0
		.amdhsa_system_vgpr_workitem_id 0
		.amdhsa_next_free_vgpr 10
		.amdhsa_next_free_sgpr 24
		.amdhsa_reserve_vcc 1
		.amdhsa_float_round_mode_32 0
		.amdhsa_float_round_mode_16_64 0
		.amdhsa_float_denorm_mode_32 3
		.amdhsa_float_denorm_mode_16_64 3
		.amdhsa_dx10_clamp 1
		.amdhsa_ieee_mode 1
		.amdhsa_fp16_overflow 0
		.amdhsa_workgroup_processor_mode 1
		.amdhsa_memory_ordered 1
		.amdhsa_forward_progress 0
		.amdhsa_shared_vgpr_count 0
		.amdhsa_exception_fp_ieee_invalid_op 0
		.amdhsa_exception_fp_denorm_src 0
		.amdhsa_exception_fp_ieee_div_zero 0
		.amdhsa_exception_fp_ieee_overflow 0
		.amdhsa_exception_fp_ieee_underflow 0
		.amdhsa_exception_fp_ieee_inexact 0
		.amdhsa_exception_int_div_zero 0
	.end_amdhsa_kernel
	.section	.text._ZN9rocsolver6v33100L12laswp_kernelIdiPdEEvT0_T1_lS3_S3_lS3_S3_PKS3_lS3_l,"axG",@progbits,_ZN9rocsolver6v33100L12laswp_kernelIdiPdEEvT0_T1_lS3_S3_lS3_S3_PKS3_lS3_l,comdat
.Lfunc_end1:
	.size	_ZN9rocsolver6v33100L12laswp_kernelIdiPdEEvT0_T1_lS3_S3_lS3_S3_PKS3_lS3_l, .Lfunc_end1-_ZN9rocsolver6v33100L12laswp_kernelIdiPdEEvT0_T1_lS3_S3_lS3_S3_PKS3_lS3_l
                                        ; -- End function
	.section	.AMDGPU.csdata,"",@progbits
; Kernel info:
; codeLenInByte = 536
; NumSgprs: 26
; NumVgprs: 10
; ScratchSize: 0
; MemoryBound: 0
; FloatMode: 240
; IeeeMode: 1
; LDSByteSize: 0 bytes/workgroup (compile time only)
; SGPRBlocks: 3
; VGPRBlocks: 1
; NumSGPRsForWavesPerEU: 26
; NumVGPRsForWavesPerEU: 10
; Occupancy: 16
; WaveLimiterHint : 1
; COMPUTE_PGM_RSRC2:SCRATCH_EN: 0
; COMPUTE_PGM_RSRC2:USER_SGPR: 14
; COMPUTE_PGM_RSRC2:TRAP_HANDLER: 0
; COMPUTE_PGM_RSRC2:TGID_X_EN: 1
; COMPUTE_PGM_RSRC2:TGID_Y_EN: 1
; COMPUTE_PGM_RSRC2:TGID_Z_EN: 0
; COMPUTE_PGM_RSRC2:TIDIG_COMP_CNT: 0
	.section	.text._ZN9rocsolver6v33100L12laswp_kernelI19rocblas_complex_numIfEiPS3_EEvT0_T1_lS5_S5_lS5_S5_PKS5_lS5_l,"axG",@progbits,_ZN9rocsolver6v33100L12laswp_kernelI19rocblas_complex_numIfEiPS3_EEvT0_T1_lS5_S5_lS5_S5_PKS5_lS5_l,comdat
	.globl	_ZN9rocsolver6v33100L12laswp_kernelI19rocblas_complex_numIfEiPS3_EEvT0_T1_lS5_S5_lS5_S5_PKS5_lS5_l ; -- Begin function _ZN9rocsolver6v33100L12laswp_kernelI19rocblas_complex_numIfEiPS3_EEvT0_T1_lS5_S5_lS5_S5_PKS5_lS5_l
	.p2align	8
	.type	_ZN9rocsolver6v33100L12laswp_kernelI19rocblas_complex_numIfEiPS3_EEvT0_T1_lS5_S5_lS5_S5_PKS5_lS5_l,@function
_ZN9rocsolver6v33100L12laswp_kernelI19rocblas_complex_numIfEiPS3_EEvT0_T1_lS5_S5_lS5_S5_PKS5_lS5_l: ; @_ZN9rocsolver6v33100L12laswp_kernelI19rocblas_complex_numIfEiPS3_EEvT0_T1_lS5_S5_lS5_S5_PKS5_lS5_l
; %bb.0:
	s_clause 0x1
	s_load_b32 s2, s[0:1], 0x5c
	s_load_b32 s3, s[0:1], 0x0
	s_waitcnt lgkmcnt(0)
	s_and_b32 s2, s2, 0xffff
	s_delay_alu instid0(SALU_CYCLE_1) | instskip(SKIP_1) | instid1(VALU_DEP_1)
	v_mad_u64_u32 v[1:2], null, s14, s2, v[0:1]
	s_mov_b32 s2, exec_lo
	v_cmpx_gt_i32_e64 s3, v1
	s_cbranch_execz .LBB2_10
; %bb.1:
	s_clause 0x1
	s_load_b32 s16, s[0:1], 0x40
	s_load_b64 s[2:3], s[0:1], 0x28
	s_waitcnt lgkmcnt(0)
	s_cmp_gt_i32 s16, -1
	s_cbranch_scc0 .LBB2_3
; %bb.2:
	s_mov_b32 s12, 1
	s_add_i32 s13, s3, 1
	s_mov_b32 s14, s2
	s_cbranch_execz .LBB2_4
	s_branch .LBB2_5
.LBB2_3:
                                        ; implicit-def: $sgpr12
                                        ; implicit-def: $sgpr13
	s_mov_b32 s14, s2
.LBB2_4:
	s_mov_b32 s12, -1
	s_add_i32 s13, s2, -1
	s_sub_i32 s16, 0, s16
	s_mov_b32 s14, s3
.LBB2_5:
	s_delay_alu instid0(SALU_CYCLE_1)
	s_cmp_eq_u32 s14, s13
	s_cbranch_scc1 .LBB2_10
; %bb.6:
	s_clause 0x2
	s_load_b64 s[18:19], s[0:1], 0x48
	s_load_b256 s[4:11], s[0:1], 0x8
	s_load_b128 s[20:23], s[0:1], 0x30
	s_ashr_i32 s3, s15, 31
	v_mov_b32_e32 v3, 0
	s_waitcnt lgkmcnt(0)
	s_mul_i32 s0, s15, s19
	s_mul_hi_u32 s1, s15, s18
	s_mul_i32 s17, s3, s18
	s_add_i32 s1, s1, s0
	s_mul_i32 s0, s15, s18
	s_add_i32 s1, s1, s17
	s_mul_i32 s11, s15, s11
	s_lshl_b64 s[0:1], s[0:1], 2
	s_mul_hi_u32 s17, s15, s10
	s_add_u32 s18, s20, s0
	s_addc_u32 s19, s21, s1
	s_lshl_b64 s[0:1], s[22:23], 2
	s_mul_i32 s3, s3, s10
	s_add_u32 s18, s18, s0
	s_addc_u32 s19, s19, s1
	s_add_i32 s1, s17, s11
	s_mul_i32 s0, s15, s10
	s_add_i32 s1, s1, s3
	v_mul_lo_u32 v0, v1, s9
	s_lshl_b64 s[0:1], s[0:1], 3
	s_delay_alu instid0(SALU_CYCLE_1)
	s_add_u32 s3, s4, s0
	s_addc_u32 s4, s5, s1
	s_lshl_b64 s[0:1], s[6:7], 3
	s_mul_i32 s7, s12, s8
	s_add_u32 s3, s3, s0
	s_addc_u32 s4, s4, s1
	s_add_u32 s5, s18, -4
	s_addc_u32 s6, s19, -1
	s_add_i32 s1, s14, -1
	s_sub_i32 s0, s14, s2
	v_mad_u64_u32 v[1:2], null, s8, s1, v[0:1]
	s_mul_i32 s0, s16, s0
	s_delay_alu instid0(SALU_CYCLE_1)
	s_add_i32 s0, s2, s0
	s_mul_i32 s2, s16, s12
	s_set_inst_prefetch_distance 0x1
	s_branch .LBB2_8
	.p2align	6
.LBB2_7:                                ;   in Loop: Header=BB2_8 Depth=1
	v_add_nc_u32_e32 v1, s7, v1
	s_add_i32 s14, s14, s12
	s_add_i32 s0, s0, s2
	s_cmp_lg_u32 s13, s14
	s_cbranch_scc0 .LBB2_10
.LBB2_8:                                ; =>This Inner Loop Header: Depth=1
	s_ashr_i32 s1, s0, 31
	s_delay_alu instid0(SALU_CYCLE_1) | instskip(NEXT) | instid1(SALU_CYCLE_1)
	s_lshl_b64 s[10:11], s[0:1], 2
	s_add_u32 s10, s5, s10
	s_addc_u32 s11, s6, s11
	global_load_b32 v2, v3, s[10:11]
	s_waitcnt vmcnt(0)
	v_cmp_eq_u32_e32 vcc_lo, s14, v2
	s_cbranch_vccnz .LBB2_7
; %bb.9:                                ;   in Loop: Header=BB2_8 Depth=1
	v_add_nc_u32_e32 v2, -1, v2
	s_delay_alu instid0(VALU_DEP_1) | instskip(SKIP_1) | instid1(VALU_DEP_1)
	v_mad_u64_u32 v[4:5], null, v2, s8, v[0:1]
	v_ashrrev_i32_e32 v2, 31, v1
	v_lshlrev_b64 v[6:7], 3, v[1:2]
	s_delay_alu instid0(VALU_DEP_3) | instskip(NEXT) | instid1(VALU_DEP_1)
	v_ashrrev_i32_e32 v5, 31, v4
	v_lshlrev_b64 v[4:5], 3, v[4:5]
	s_delay_alu instid0(VALU_DEP_1) | instskip(NEXT) | instid1(VALU_DEP_2)
	v_add_co_u32 v4, vcc_lo, s3, v4
	v_add_co_ci_u32_e32 v5, vcc_lo, s4, v5, vcc_lo
	v_add_co_u32 v6, vcc_lo, s3, v6
	v_add_co_ci_u32_e32 v7, vcc_lo, s4, v7, vcc_lo
	s_clause 0x1
	global_load_b64 v[8:9], v[4:5], off
	global_load_b64 v[10:11], v[6:7], off
	s_waitcnt vmcnt(1)
	global_store_b64 v[6:7], v[8:9], off
	s_waitcnt vmcnt(0)
	global_store_b64 v[4:5], v[10:11], off
	s_branch .LBB2_7
.LBB2_10:
	s_set_inst_prefetch_distance 0x2
	s_nop 0
	s_sendmsg sendmsg(MSG_DEALLOC_VGPRS)
	s_endpgm
	.section	.rodata,"a",@progbits
	.p2align	6, 0x0
	.amdhsa_kernel _ZN9rocsolver6v33100L12laswp_kernelI19rocblas_complex_numIfEiPS3_EEvT0_T1_lS5_S5_lS5_S5_PKS5_lS5_l
		.amdhsa_group_segment_fixed_size 0
		.amdhsa_private_segment_fixed_size 0
		.amdhsa_kernarg_size 336
		.amdhsa_user_sgpr_count 14
		.amdhsa_user_sgpr_dispatch_ptr 0
		.amdhsa_user_sgpr_queue_ptr 0
		.amdhsa_user_sgpr_kernarg_segment_ptr 1
		.amdhsa_user_sgpr_dispatch_id 0
		.amdhsa_user_sgpr_private_segment_size 0
		.amdhsa_wavefront_size32 1
		.amdhsa_uses_dynamic_stack 0
		.amdhsa_enable_private_segment 0
		.amdhsa_system_sgpr_workgroup_id_x 1
		.amdhsa_system_sgpr_workgroup_id_y 1
		.amdhsa_system_sgpr_workgroup_id_z 0
		.amdhsa_system_sgpr_workgroup_info 0
		.amdhsa_system_vgpr_workitem_id 0
		.amdhsa_next_free_vgpr 12
		.amdhsa_next_free_sgpr 24
		.amdhsa_reserve_vcc 1
		.amdhsa_float_round_mode_32 0
		.amdhsa_float_round_mode_16_64 0
		.amdhsa_float_denorm_mode_32 3
		.amdhsa_float_denorm_mode_16_64 3
		.amdhsa_dx10_clamp 1
		.amdhsa_ieee_mode 1
		.amdhsa_fp16_overflow 0
		.amdhsa_workgroup_processor_mode 1
		.amdhsa_memory_ordered 1
		.amdhsa_forward_progress 0
		.amdhsa_shared_vgpr_count 0
		.amdhsa_exception_fp_ieee_invalid_op 0
		.amdhsa_exception_fp_denorm_src 0
		.amdhsa_exception_fp_ieee_div_zero 0
		.amdhsa_exception_fp_ieee_overflow 0
		.amdhsa_exception_fp_ieee_underflow 0
		.amdhsa_exception_fp_ieee_inexact 0
		.amdhsa_exception_int_div_zero 0
	.end_amdhsa_kernel
	.section	.text._ZN9rocsolver6v33100L12laswp_kernelI19rocblas_complex_numIfEiPS3_EEvT0_T1_lS5_S5_lS5_S5_PKS5_lS5_l,"axG",@progbits,_ZN9rocsolver6v33100L12laswp_kernelI19rocblas_complex_numIfEiPS3_EEvT0_T1_lS5_S5_lS5_S5_PKS5_lS5_l,comdat
.Lfunc_end2:
	.size	_ZN9rocsolver6v33100L12laswp_kernelI19rocblas_complex_numIfEiPS3_EEvT0_T1_lS5_S5_lS5_S5_PKS5_lS5_l, .Lfunc_end2-_ZN9rocsolver6v33100L12laswp_kernelI19rocblas_complex_numIfEiPS3_EEvT0_T1_lS5_S5_lS5_S5_PKS5_lS5_l
                                        ; -- End function
	.section	.AMDGPU.csdata,"",@progbits
; Kernel info:
; codeLenInByte = 540
; NumSgprs: 26
; NumVgprs: 12
; ScratchSize: 0
; MemoryBound: 0
; FloatMode: 240
; IeeeMode: 1
; LDSByteSize: 0 bytes/workgroup (compile time only)
; SGPRBlocks: 3
; VGPRBlocks: 1
; NumSGPRsForWavesPerEU: 26
; NumVGPRsForWavesPerEU: 12
; Occupancy: 16
; WaveLimiterHint : 1
; COMPUTE_PGM_RSRC2:SCRATCH_EN: 0
; COMPUTE_PGM_RSRC2:USER_SGPR: 14
; COMPUTE_PGM_RSRC2:TRAP_HANDLER: 0
; COMPUTE_PGM_RSRC2:TGID_X_EN: 1
; COMPUTE_PGM_RSRC2:TGID_Y_EN: 1
; COMPUTE_PGM_RSRC2:TGID_Z_EN: 0
; COMPUTE_PGM_RSRC2:TIDIG_COMP_CNT: 0
	.section	.text._ZN9rocsolver6v33100L12laswp_kernelI19rocblas_complex_numIdEiPS3_EEvT0_T1_lS5_S5_lS5_S5_PKS5_lS5_l,"axG",@progbits,_ZN9rocsolver6v33100L12laswp_kernelI19rocblas_complex_numIdEiPS3_EEvT0_T1_lS5_S5_lS5_S5_PKS5_lS5_l,comdat
	.globl	_ZN9rocsolver6v33100L12laswp_kernelI19rocblas_complex_numIdEiPS3_EEvT0_T1_lS5_S5_lS5_S5_PKS5_lS5_l ; -- Begin function _ZN9rocsolver6v33100L12laswp_kernelI19rocblas_complex_numIdEiPS3_EEvT0_T1_lS5_S5_lS5_S5_PKS5_lS5_l
	.p2align	8
	.type	_ZN9rocsolver6v33100L12laswp_kernelI19rocblas_complex_numIdEiPS3_EEvT0_T1_lS5_S5_lS5_S5_PKS5_lS5_l,@function
_ZN9rocsolver6v33100L12laswp_kernelI19rocblas_complex_numIdEiPS3_EEvT0_T1_lS5_S5_lS5_S5_PKS5_lS5_l: ; @_ZN9rocsolver6v33100L12laswp_kernelI19rocblas_complex_numIdEiPS3_EEvT0_T1_lS5_S5_lS5_S5_PKS5_lS5_l
; %bb.0:
	s_clause 0x1
	s_load_b32 s4, s[2:3], 0x5c
	s_load_b32 s5, s[2:3], 0x0
	v_and_b32_e32 v3, 0x3ff, v0
	s_waitcnt lgkmcnt(0)
	s_and_b32 s4, s4, 0xffff
	s_delay_alu instid0(VALU_DEP_1) | instid1(SALU_CYCLE_1)
	v_mad_u64_u32 v[1:2], null, s14, s4, v[3:4]
	s_mov_b32 s4, exec_lo
	s_delay_alu instid0(VALU_DEP_1)
	v_cmpx_gt_i32_e64 s5, v1
	s_cbranch_execz .LBB3_10
; %bb.1:
	s_clause 0x1
	s_load_b32 s18, s[2:3], 0x40
	s_load_b64 s[12:13], s[2:3], 0x28
	s_waitcnt lgkmcnt(0)
	s_cmp_gt_i32 s18, -1
	s_cbranch_scc0 .LBB3_3
; %bb.2:
	s_mov_b32 s14, 1
	s_add_i32 s16, s13, 1
	s_mov_b32 s17, s12
	s_cbranch_execz .LBB3_4
	s_branch .LBB3_5
.LBB3_3:
                                        ; implicit-def: $sgpr14
                                        ; implicit-def: $sgpr16
	s_mov_b32 s17, s12
.LBB3_4:
	s_mov_b32 s14, -1
	s_add_i32 s16, s12, -1
	s_sub_i32 s18, 0, s18
	s_mov_b32 s17, s13
.LBB3_5:
	s_delay_alu instid0(SALU_CYCLE_1)
	s_cmp_eq_u32 s17, s16
	s_cbranch_scc1 .LBB3_10
; %bb.6:
	s_clause 0x2
	s_load_b64 s[24:25], s[2:3], 0x48
	s_load_b256 s[4:11], s[2:3], 0x8
	s_load_b128 s[20:23], s[2:3], 0x30
	s_ashr_i32 s13, s15, 31
	s_load_b64 s[0:1], s[0:1], 0x4
	s_waitcnt lgkmcnt(0)
	s_mul_i32 s2, s15, s25
	s_mul_hi_u32 s3, s15, s24
	s_mul_i32 s19, s13, s24
	s_add_i32 s3, s3, s2
	s_mul_i32 s2, s15, s24
	s_add_i32 s3, s3, s19
	s_mul_i32 s11, s15, s11
	s_lshl_b64 s[2:3], s[2:3], 2
	s_mul_hi_u32 s19, s15, s10
	s_add_u32 s20, s20, s2
	s_addc_u32 s21, s21, s3
	s_lshl_b64 s[2:3], s[22:23], 2
	s_mul_i32 s13, s13, s10
	s_add_u32 s20, s20, s2
	s_addc_u32 s21, s21, s3
	s_add_i32 s3, s19, s11
	s_mul_i32 s2, s15, s10
	s_add_i32 s3, s3, s13
	v_mul_lo_u32 v1, v1, s9
	s_lshl_b64 s[2:3], s[2:3], 4
	s_delay_alu instid0(SALU_CYCLE_1)
	s_add_u32 s4, s4, s2
	s_addc_u32 s5, s5, s3
	s_lshl_b64 s[2:3], s[6:7], 4
	s_mul_i32 s6, s18, s14
	s_add_u32 s2, s4, s2
	s_addc_u32 s3, s5, s3
	s_lshr_b32 s0, s0, 16
	s_add_u32 s4, s20, -4
	s_mul_i32 s0, s0, s1
	s_addc_u32 s5, s21, -1
	v_mul_lo_u32 v2, s0, v3
	v_bfe_u32 v3, v0, 10, 10
	v_bfe_u32 v0, v0, 20, 10
	s_sub_i32 s0, s17, s12
	s_mul_i32 s7, s14, s8
	s_mul_i32 s0, s18, s0
	s_delay_alu instid0(SALU_CYCLE_1) | instskip(NEXT) | instid1(VALU_DEP_3)
	s_add_i32 s0, s12, s0
	v_mad_u32_u24 v4, v3, s1, v2
	s_add_i32 s1, s17, -1
	s_delay_alu instid0(SALU_CYCLE_1) | instskip(NEXT) | instid1(VALU_DEP_2)
	v_mad_u64_u32 v[2:3], null, s8, s1, v[1:2]
	v_add_lshl_u32 v0, v4, v0, 4
	v_mov_b32_e32 v4, 0
	s_set_inst_prefetch_distance 0x1
	s_branch .LBB3_8
	.p2align	6
.LBB3_7:                                ;   in Loop: Header=BB3_8 Depth=1
	v_add_nc_u32_e32 v2, s7, v2
	s_add_i32 s17, s17, s14
	s_add_i32 s0, s0, s6
	s_cmp_lg_u32 s16, s17
	s_cbranch_scc0 .LBB3_10
.LBB3_8:                                ; =>This Inner Loop Header: Depth=1
	s_ashr_i32 s1, s0, 31
	s_delay_alu instid0(SALU_CYCLE_1) | instskip(NEXT) | instid1(SALU_CYCLE_1)
	s_lshl_b64 s[10:11], s[0:1], 2
	s_add_u32 s10, s4, s10
	s_addc_u32 s11, s5, s11
	global_load_b32 v3, v4, s[10:11]
	s_waitcnt vmcnt(0)
	v_cmp_eq_u32_e32 vcc_lo, s17, v3
	s_cbranch_vccnz .LBB3_7
; %bb.9:                                ;   in Loop: Header=BB3_8 Depth=1
	v_add_nc_u32_e32 v3, -1, v3
	s_delay_alu instid0(VALU_DEP_1) | instskip(SKIP_1) | instid1(VALU_DEP_1)
	v_mad_u64_u32 v[5:6], null, v3, s8, v[1:2]
	v_ashrrev_i32_e32 v3, 31, v2
	v_lshlrev_b64 v[7:8], 4, v[2:3]
	s_delay_alu instid0(VALU_DEP_3) | instskip(NEXT) | instid1(VALU_DEP_2)
	v_ashrrev_i32_e32 v6, 31, v5
	v_add_co_u32 v13, vcc_lo, s2, v7
	s_delay_alu instid0(VALU_DEP_2) | instskip(NEXT) | instid1(VALU_DEP_4)
	v_lshlrev_b64 v[5:6], 4, v[5:6]
	v_add_co_ci_u32_e32 v14, vcc_lo, s3, v8, vcc_lo
	s_delay_alu instid0(VALU_DEP_2) | instskip(NEXT) | instid1(VALU_DEP_3)
	v_add_co_u32 v15, vcc_lo, s2, v5
	v_add_co_ci_u32_e32 v16, vcc_lo, s3, v6, vcc_lo
	s_clause 0x1
	global_load_b128 v[5:8], v[13:14], off
	global_load_b128 v[9:12], v[15:16], off
	s_waitcnt vmcnt(1)
	ds_store_2addr_b64 v0, v[5:6], v[7:8] offset1:1
	s_waitcnt vmcnt(0)
	s_clause 0x1
	global_store_b128 v[13:14], v[9:12], off
	global_store_b128 v[15:16], v[5:8], off
	s_branch .LBB3_7
.LBB3_10:
	s_set_inst_prefetch_distance 0x2
	s_nop 0
	s_sendmsg sendmsg(MSG_DEALLOC_VGPRS)
	s_endpgm
	.section	.rodata,"a",@progbits
	.p2align	6, 0x0
	.amdhsa_kernel _ZN9rocsolver6v33100L12laswp_kernelI19rocblas_complex_numIdEiPS3_EEvT0_T1_lS5_S5_lS5_S5_PKS5_lS5_l
		.amdhsa_group_segment_fixed_size 16384
		.amdhsa_private_segment_fixed_size 0
		.amdhsa_kernarg_size 336
		.amdhsa_user_sgpr_count 14
		.amdhsa_user_sgpr_dispatch_ptr 1
		.amdhsa_user_sgpr_queue_ptr 0
		.amdhsa_user_sgpr_kernarg_segment_ptr 1
		.amdhsa_user_sgpr_dispatch_id 0
		.amdhsa_user_sgpr_private_segment_size 0
		.amdhsa_wavefront_size32 1
		.amdhsa_uses_dynamic_stack 0
		.amdhsa_enable_private_segment 0
		.amdhsa_system_sgpr_workgroup_id_x 1
		.amdhsa_system_sgpr_workgroup_id_y 1
		.amdhsa_system_sgpr_workgroup_id_z 0
		.amdhsa_system_sgpr_workgroup_info 0
		.amdhsa_system_vgpr_workitem_id 2
		.amdhsa_next_free_vgpr 17
		.amdhsa_next_free_sgpr 26
		.amdhsa_reserve_vcc 1
		.amdhsa_float_round_mode_32 0
		.amdhsa_float_round_mode_16_64 0
		.amdhsa_float_denorm_mode_32 3
		.amdhsa_float_denorm_mode_16_64 3
		.amdhsa_dx10_clamp 1
		.amdhsa_ieee_mode 1
		.amdhsa_fp16_overflow 0
		.amdhsa_workgroup_processor_mode 1
		.amdhsa_memory_ordered 1
		.amdhsa_forward_progress 0
		.amdhsa_shared_vgpr_count 0
		.amdhsa_exception_fp_ieee_invalid_op 0
		.amdhsa_exception_fp_denorm_src 0
		.amdhsa_exception_fp_ieee_div_zero 0
		.amdhsa_exception_fp_ieee_overflow 0
		.amdhsa_exception_fp_ieee_underflow 0
		.amdhsa_exception_fp_ieee_inexact 0
		.amdhsa_exception_int_div_zero 0
	.end_amdhsa_kernel
	.section	.text._ZN9rocsolver6v33100L12laswp_kernelI19rocblas_complex_numIdEiPS3_EEvT0_T1_lS5_S5_lS5_S5_PKS5_lS5_l,"axG",@progbits,_ZN9rocsolver6v33100L12laswp_kernelI19rocblas_complex_numIdEiPS3_EEvT0_T1_lS5_S5_lS5_S5_PKS5_lS5_l,comdat
.Lfunc_end3:
	.size	_ZN9rocsolver6v33100L12laswp_kernelI19rocblas_complex_numIdEiPS3_EEvT0_T1_lS5_S5_lS5_S5_PKS5_lS5_l, .Lfunc_end3-_ZN9rocsolver6v33100L12laswp_kernelI19rocblas_complex_numIdEiPS3_EEvT0_T1_lS5_S5_lS5_S5_PKS5_lS5_l
                                        ; -- End function
	.section	.AMDGPU.csdata,"",@progbits
; Kernel info:
; codeLenInByte = 628
; NumSgprs: 28
; NumVgprs: 17
; ScratchSize: 0
; MemoryBound: 0
; FloatMode: 240
; IeeeMode: 1
; LDSByteSize: 16384 bytes/workgroup (compile time only)
; SGPRBlocks: 3
; VGPRBlocks: 2
; NumSGPRsForWavesPerEU: 28
; NumVGPRsForWavesPerEU: 17
; Occupancy: 16
; WaveLimiterHint : 1
; COMPUTE_PGM_RSRC2:SCRATCH_EN: 0
; COMPUTE_PGM_RSRC2:USER_SGPR: 14
; COMPUTE_PGM_RSRC2:TRAP_HANDLER: 0
; COMPUTE_PGM_RSRC2:TGID_X_EN: 1
; COMPUTE_PGM_RSRC2:TGID_Y_EN: 1
; COMPUTE_PGM_RSRC2:TGID_Z_EN: 0
; COMPUTE_PGM_RSRC2:TIDIG_COMP_CNT: 2
	.text
	.p2alignl 7, 3214868480
	.fill 96, 4, 3214868480
	.type	__hip_cuid_32644426d7f3c209,@object ; @__hip_cuid_32644426d7f3c209
	.section	.bss,"aw",@nobits
	.globl	__hip_cuid_32644426d7f3c209
__hip_cuid_32644426d7f3c209:
	.byte	0                               ; 0x0
	.size	__hip_cuid_32644426d7f3c209, 1

	.ident	"AMD clang version 19.0.0git (https://github.com/RadeonOpenCompute/llvm-project roc-6.4.0 25133 c7fe45cf4b819c5991fe208aaa96edf142730f1d)"
	.section	".note.GNU-stack","",@progbits
	.addrsig
	.addrsig_sym __hip_cuid_32644426d7f3c209
	.amdgpu_metadata
---
amdhsa.kernels:
  - .args:
      - .offset:         0
        .size:           4
        .value_kind:     by_value
      - .address_space:  global
        .offset:         8
        .size:           8
        .value_kind:     global_buffer
      - .offset:         16
        .size:           8
        .value_kind:     by_value
      - .offset:         24
        .size:           4
        .value_kind:     by_value
      - .offset:         28
        .size:           4
        .value_kind:     by_value
      - .offset:         32
        .size:           8
        .value_kind:     by_value
      - .offset:         40
        .size:           4
        .value_kind:     by_value
      - .offset:         44
        .size:           4
        .value_kind:     by_value
      - .address_space:  global
        .offset:         48
        .size:           8
        .value_kind:     global_buffer
      - .offset:         56
        .size:           8
        .value_kind:     by_value
      - .offset:         64
        .size:           4
        .value_kind:     by_value
      - .offset:         72
        .size:           8
        .value_kind:     by_value
      - .offset:         80
        .size:           4
        .value_kind:     hidden_block_count_x
      - .offset:         84
        .size:           4
        .value_kind:     hidden_block_count_y
      - .offset:         88
        .size:           4
        .value_kind:     hidden_block_count_z
      - .offset:         92
        .size:           2
        .value_kind:     hidden_group_size_x
      - .offset:         94
        .size:           2
        .value_kind:     hidden_group_size_y
      - .offset:         96
        .size:           2
        .value_kind:     hidden_group_size_z
      - .offset:         98
        .size:           2
        .value_kind:     hidden_remainder_x
      - .offset:         100
        .size:           2
        .value_kind:     hidden_remainder_y
      - .offset:         102
        .size:           2
        .value_kind:     hidden_remainder_z
      - .offset:         120
        .size:           8
        .value_kind:     hidden_global_offset_x
      - .offset:         128
        .size:           8
        .value_kind:     hidden_global_offset_y
      - .offset:         136
        .size:           8
        .value_kind:     hidden_global_offset_z
      - .offset:         144
        .size:           2
        .value_kind:     hidden_grid_dims
    .group_segment_fixed_size: 0
    .kernarg_segment_align: 8
    .kernarg_segment_size: 336
    .language:       OpenCL C
    .language_version:
      - 2
      - 0
    .max_flat_workgroup_size: 1024
    .name:           _ZN9rocsolver6v33100L12laswp_kernelIfiPfEEvT0_T1_lS3_S3_lS3_S3_PKS3_lS3_l
    .private_segment_fixed_size: 0
    .sgpr_count:     26
    .sgpr_spill_count: 0
    .symbol:         _ZN9rocsolver6v33100L12laswp_kernelIfiPfEEvT0_T1_lS3_S3_lS3_S3_PKS3_lS3_l.kd
    .uniform_work_group_size: 1
    .uses_dynamic_stack: false
    .vgpr_count:     8
    .vgpr_spill_count: 0
    .wavefront_size: 32
    .workgroup_processor_mode: 1
  - .args:
      - .offset:         0
        .size:           4
        .value_kind:     by_value
      - .address_space:  global
        .offset:         8
        .size:           8
        .value_kind:     global_buffer
      - .offset:         16
        .size:           8
        .value_kind:     by_value
      - .offset:         24
        .size:           4
        .value_kind:     by_value
      - .offset:         28
        .size:           4
        .value_kind:     by_value
      - .offset:         32
        .size:           8
        .value_kind:     by_value
      - .offset:         40
        .size:           4
        .value_kind:     by_value
      - .offset:         44
        .size:           4
        .value_kind:     by_value
      - .address_space:  global
        .offset:         48
        .size:           8
        .value_kind:     global_buffer
      - .offset:         56
        .size:           8
        .value_kind:     by_value
      - .offset:         64
        .size:           4
        .value_kind:     by_value
      - .offset:         72
        .size:           8
        .value_kind:     by_value
      - .offset:         80
        .size:           4
        .value_kind:     hidden_block_count_x
      - .offset:         84
        .size:           4
        .value_kind:     hidden_block_count_y
      - .offset:         88
        .size:           4
        .value_kind:     hidden_block_count_z
      - .offset:         92
        .size:           2
        .value_kind:     hidden_group_size_x
      - .offset:         94
        .size:           2
        .value_kind:     hidden_group_size_y
      - .offset:         96
        .size:           2
        .value_kind:     hidden_group_size_z
      - .offset:         98
        .size:           2
        .value_kind:     hidden_remainder_x
      - .offset:         100
        .size:           2
        .value_kind:     hidden_remainder_y
      - .offset:         102
        .size:           2
        .value_kind:     hidden_remainder_z
      - .offset:         120
        .size:           8
        .value_kind:     hidden_global_offset_x
      - .offset:         128
        .size:           8
        .value_kind:     hidden_global_offset_y
      - .offset:         136
        .size:           8
        .value_kind:     hidden_global_offset_z
      - .offset:         144
        .size:           2
        .value_kind:     hidden_grid_dims
    .group_segment_fixed_size: 0
    .kernarg_segment_align: 8
    .kernarg_segment_size: 336
    .language:       OpenCL C
    .language_version:
      - 2
      - 0
    .max_flat_workgroup_size: 1024
    .name:           _ZN9rocsolver6v33100L12laswp_kernelIdiPdEEvT0_T1_lS3_S3_lS3_S3_PKS3_lS3_l
    .private_segment_fixed_size: 0
    .sgpr_count:     26
    .sgpr_spill_count: 0
    .symbol:         _ZN9rocsolver6v33100L12laswp_kernelIdiPdEEvT0_T1_lS3_S3_lS3_S3_PKS3_lS3_l.kd
    .uniform_work_group_size: 1
    .uses_dynamic_stack: false
    .vgpr_count:     10
    .vgpr_spill_count: 0
    .wavefront_size: 32
    .workgroup_processor_mode: 1
  - .args:
      - .offset:         0
        .size:           4
        .value_kind:     by_value
      - .address_space:  global
        .offset:         8
        .size:           8
        .value_kind:     global_buffer
      - .offset:         16
        .size:           8
        .value_kind:     by_value
      - .offset:         24
        .size:           4
        .value_kind:     by_value
      - .offset:         28
        .size:           4
        .value_kind:     by_value
      - .offset:         32
        .size:           8
        .value_kind:     by_value
      - .offset:         40
        .size:           4
        .value_kind:     by_value
      - .offset:         44
        .size:           4
        .value_kind:     by_value
      - .address_space:  global
        .offset:         48
        .size:           8
        .value_kind:     global_buffer
      - .offset:         56
        .size:           8
        .value_kind:     by_value
      - .offset:         64
        .size:           4
        .value_kind:     by_value
      - .offset:         72
        .size:           8
        .value_kind:     by_value
      - .offset:         80
        .size:           4
        .value_kind:     hidden_block_count_x
      - .offset:         84
        .size:           4
        .value_kind:     hidden_block_count_y
      - .offset:         88
        .size:           4
        .value_kind:     hidden_block_count_z
      - .offset:         92
        .size:           2
        .value_kind:     hidden_group_size_x
      - .offset:         94
        .size:           2
        .value_kind:     hidden_group_size_y
      - .offset:         96
        .size:           2
        .value_kind:     hidden_group_size_z
      - .offset:         98
        .size:           2
        .value_kind:     hidden_remainder_x
      - .offset:         100
        .size:           2
        .value_kind:     hidden_remainder_y
      - .offset:         102
        .size:           2
        .value_kind:     hidden_remainder_z
      - .offset:         120
        .size:           8
        .value_kind:     hidden_global_offset_x
      - .offset:         128
        .size:           8
        .value_kind:     hidden_global_offset_y
      - .offset:         136
        .size:           8
        .value_kind:     hidden_global_offset_z
      - .offset:         144
        .size:           2
        .value_kind:     hidden_grid_dims
    .group_segment_fixed_size: 0
    .kernarg_segment_align: 8
    .kernarg_segment_size: 336
    .language:       OpenCL C
    .language_version:
      - 2
      - 0
    .max_flat_workgroup_size: 1024
    .name:           _ZN9rocsolver6v33100L12laswp_kernelI19rocblas_complex_numIfEiPS3_EEvT0_T1_lS5_S5_lS5_S5_PKS5_lS5_l
    .private_segment_fixed_size: 0
    .sgpr_count:     26
    .sgpr_spill_count: 0
    .symbol:         _ZN9rocsolver6v33100L12laswp_kernelI19rocblas_complex_numIfEiPS3_EEvT0_T1_lS5_S5_lS5_S5_PKS5_lS5_l.kd
    .uniform_work_group_size: 1
    .uses_dynamic_stack: false
    .vgpr_count:     12
    .vgpr_spill_count: 0
    .wavefront_size: 32
    .workgroup_processor_mode: 1
  - .args:
      - .offset:         0
        .size:           4
        .value_kind:     by_value
      - .address_space:  global
        .offset:         8
        .size:           8
        .value_kind:     global_buffer
      - .offset:         16
        .size:           8
        .value_kind:     by_value
      - .offset:         24
        .size:           4
        .value_kind:     by_value
      - .offset:         28
        .size:           4
        .value_kind:     by_value
      - .offset:         32
        .size:           8
        .value_kind:     by_value
      - .offset:         40
        .size:           4
        .value_kind:     by_value
      - .offset:         44
        .size:           4
        .value_kind:     by_value
      - .address_space:  global
        .offset:         48
        .size:           8
        .value_kind:     global_buffer
      - .offset:         56
        .size:           8
        .value_kind:     by_value
      - .offset:         64
        .size:           4
        .value_kind:     by_value
      - .offset:         72
        .size:           8
        .value_kind:     by_value
      - .offset:         80
        .size:           4
        .value_kind:     hidden_block_count_x
      - .offset:         84
        .size:           4
        .value_kind:     hidden_block_count_y
      - .offset:         88
        .size:           4
        .value_kind:     hidden_block_count_z
      - .offset:         92
        .size:           2
        .value_kind:     hidden_group_size_x
      - .offset:         94
        .size:           2
        .value_kind:     hidden_group_size_y
      - .offset:         96
        .size:           2
        .value_kind:     hidden_group_size_z
      - .offset:         98
        .size:           2
        .value_kind:     hidden_remainder_x
      - .offset:         100
        .size:           2
        .value_kind:     hidden_remainder_y
      - .offset:         102
        .size:           2
        .value_kind:     hidden_remainder_z
      - .offset:         120
        .size:           8
        .value_kind:     hidden_global_offset_x
      - .offset:         128
        .size:           8
        .value_kind:     hidden_global_offset_y
      - .offset:         136
        .size:           8
        .value_kind:     hidden_global_offset_z
      - .offset:         144
        .size:           2
        .value_kind:     hidden_grid_dims
    .group_segment_fixed_size: 16384
    .kernarg_segment_align: 8
    .kernarg_segment_size: 336
    .language:       OpenCL C
    .language_version:
      - 2
      - 0
    .max_flat_workgroup_size: 1024
    .name:           _ZN9rocsolver6v33100L12laswp_kernelI19rocblas_complex_numIdEiPS3_EEvT0_T1_lS5_S5_lS5_S5_PKS5_lS5_l
    .private_segment_fixed_size: 0
    .sgpr_count:     28
    .sgpr_spill_count: 0
    .symbol:         _ZN9rocsolver6v33100L12laswp_kernelI19rocblas_complex_numIdEiPS3_EEvT0_T1_lS5_S5_lS5_S5_PKS5_lS5_l.kd
    .uniform_work_group_size: 1
    .uses_dynamic_stack: false
    .vgpr_count:     17
    .vgpr_spill_count: 0
    .wavefront_size: 32
    .workgroup_processor_mode: 1
amdhsa.target:   amdgcn-amd-amdhsa--gfx1100
amdhsa.version:
  - 1
  - 2
...

	.end_amdgpu_metadata
